;; amdgpu-corpus repo=ROCm/rocFFT kind=compiled arch=gfx950 opt=O3
	.text
	.amdgcn_target "amdgcn-amd-amdhsa--gfx950"
	.amdhsa_code_object_version 6
	.protected	fft_rtc_back_len130_factors_13_10_wgs_52_tpt_13_sp_ip_CI_unitstride_sbrr_dirReg ; -- Begin function fft_rtc_back_len130_factors_13_10_wgs_52_tpt_13_sp_ip_CI_unitstride_sbrr_dirReg
	.globl	fft_rtc_back_len130_factors_13_10_wgs_52_tpt_13_sp_ip_CI_unitstride_sbrr_dirReg
	.p2align	8
	.type	fft_rtc_back_len130_factors_13_10_wgs_52_tpt_13_sp_ip_CI_unitstride_sbrr_dirReg,@function
fft_rtc_back_len130_factors_13_10_wgs_52_tpt_13_sp_ip_CI_unitstride_sbrr_dirReg: ; @fft_rtc_back_len130_factors_13_10_wgs_52_tpt_13_sp_ip_CI_unitstride_sbrr_dirReg
; %bb.0:
	s_load_dwordx2 s[8:9], s[0:1], 0x50
	s_load_dwordx4 s[4:7], s[0:1], 0x0
	s_load_dwordx2 s[10:11], s[0:1], 0x18
	v_mul_u32_u24_e32 v1, 0x13b2, v0
	v_lshrrev_b32_e32 v1, 16, v1
	v_lshl_add_u32 v6, s2, 2, v1
	v_mov_b32_e32 v4, 0
	s_waitcnt lgkmcnt(0)
	v_cmp_lt_u64_e64 s[2:3], s[6:7], 2
	v_mov_b32_e32 v7, v4
	s_and_b64 vcc, exec, s[2:3]
	v_mov_b64_e32 v[2:3], 0
	s_cbranch_vccnz .LBB0_8
; %bb.1:
	s_load_dwordx2 s[2:3], s[0:1], 0x10
	s_add_u32 s12, s10, 8
	s_addc_u32 s13, s11, 0
	s_mov_b64 s[14:15], 1
	v_mov_b64_e32 v[2:3], 0
	s_waitcnt lgkmcnt(0)
	s_add_u32 s16, s2, 8
	s_addc_u32 s17, s3, 0
.LBB0_2:                                ; =>This Inner Loop Header: Depth=1
	s_load_dwordx2 s[18:19], s[16:17], 0x0
                                        ; implicit-def: $vgpr8_vgpr9
	s_waitcnt lgkmcnt(0)
	v_or_b32_e32 v5, s19, v7
	v_cmp_ne_u64_e32 vcc, 0, v[4:5]
	s_and_saveexec_b64 s[2:3], vcc
	s_xor_b64 s[20:21], exec, s[2:3]
	s_cbranch_execz .LBB0_4
; %bb.3:                                ;   in Loop: Header=BB0_2 Depth=1
	v_cvt_f32_u32_e32 v5, s18
	v_cvt_f32_u32_e32 v8, s19
	s_sub_u32 s2, 0, s18
	s_subb_u32 s3, 0, s19
	v_fmac_f32_e32 v5, 0x4f800000, v8
	v_rcp_f32_e32 v5, v5
	s_nop 0
	v_mul_f32_e32 v5, 0x5f7ffffc, v5
	v_mul_f32_e32 v8, 0x2f800000, v5
	v_trunc_f32_e32 v8, v8
	v_fmac_f32_e32 v5, 0xcf800000, v8
	v_cvt_u32_f32_e32 v12, v8
	v_cvt_u32_f32_e32 v5, v5
	v_mul_lo_u32 v8, s2, v12
	v_mul_hi_u32 v10, s2, v5
	v_mul_lo_u32 v9, s3, v5
	v_add_u32_e32 v10, v10, v8
	v_mul_lo_u32 v13, s2, v5
	v_add_u32_e32 v14, v10, v9
	v_mul_hi_u32 v8, v5, v13
	v_mul_hi_u32 v11, v5, v14
	v_mul_lo_u32 v10, v5, v14
	v_mov_b32_e32 v9, v4
	v_lshl_add_u64 v[8:9], v[8:9], 0, v[10:11]
	v_mul_hi_u32 v11, v12, v13
	v_mul_lo_u32 v13, v12, v13
	v_add_co_u32_e32 v8, vcc, v8, v13
	v_mul_hi_u32 v10, v12, v14
	s_nop 0
	v_addc_co_u32_e32 v8, vcc, v9, v11, vcc
	v_mov_b32_e32 v9, v4
	s_nop 0
	v_addc_co_u32_e32 v11, vcc, 0, v10, vcc
	v_mul_lo_u32 v10, v12, v14
	v_lshl_add_u64 v[8:9], v[8:9], 0, v[10:11]
	v_add_co_u32_e32 v5, vcc, v5, v8
	v_mul_lo_u32 v10, s2, v5
	s_nop 0
	v_addc_co_u32_e32 v12, vcc, v12, v9, vcc
	v_mul_lo_u32 v8, s2, v12
	v_mul_hi_u32 v9, s2, v5
	v_add_u32_e32 v8, v9, v8
	v_mul_lo_u32 v9, s3, v5
	v_add_u32_e32 v13, v8, v9
	v_mul_hi_u32 v15, v12, v10
	v_mul_lo_u32 v16, v12, v10
	v_mul_hi_u32 v9, v5, v13
	v_mul_lo_u32 v8, v5, v13
	v_mul_hi_u32 v10, v5, v10
	v_mov_b32_e32 v11, v4
	v_lshl_add_u64 v[8:9], v[10:11], 0, v[8:9]
	v_add_co_u32_e32 v8, vcc, v8, v16
	v_mul_hi_u32 v14, v12, v13
	s_nop 0
	v_addc_co_u32_e32 v8, vcc, v9, v15, vcc
	v_mul_lo_u32 v10, v12, v13
	s_nop 0
	v_addc_co_u32_e32 v11, vcc, 0, v14, vcc
	v_mov_b32_e32 v9, v4
	v_lshl_add_u64 v[8:9], v[8:9], 0, v[10:11]
	v_add_co_u32_e32 v5, vcc, v5, v8
	v_mul_hi_u32 v10, v6, v5
	s_nop 0
	v_addc_co_u32_e32 v12, vcc, v12, v9, vcc
	v_mad_u64_u32 v[8:9], s[2:3], v6, v12, 0
	v_mov_b32_e32 v11, v4
	v_lshl_add_u64 v[8:9], v[10:11], 0, v[8:9]
	v_mad_u64_u32 v[10:11], s[2:3], v7, v12, 0
	v_mad_u64_u32 v[12:13], s[2:3], v7, v5, 0
	v_add_co_u32_e32 v5, vcc, v8, v12
	s_nop 1
	v_addc_co_u32_e32 v8, vcc, v9, v13, vcc
	v_mov_b32_e32 v9, v4
	s_nop 0
	v_addc_co_u32_e32 v11, vcc, 0, v11, vcc
	v_lshl_add_u64 v[8:9], v[8:9], 0, v[10:11]
	v_mul_lo_u32 v5, s19, v8
	v_mul_lo_u32 v12, s18, v9
	v_mad_u64_u32 v[10:11], s[2:3], s18, v8, 0
	v_add3_u32 v5, v11, v12, v5
	v_sub_u32_e32 v11, v7, v5
	v_mov_b32_e32 v12, s19
	v_sub_co_u32_e32 v14, vcc, v6, v10
	s_nop 1
	v_subb_co_u32_e64 v10, s[2:3], v11, v12, vcc
	v_subrev_co_u32_e64 v11, s[2:3], s18, v14
	v_subb_co_u32_e32 v5, vcc, v7, v5, vcc
	s_nop 0
	v_subbrev_co_u32_e64 v10, s[2:3], 0, v10, s[2:3]
	v_cmp_le_u32_e64 s[2:3], s19, v10
	v_cmp_le_u32_e32 vcc, s19, v5
	s_nop 0
	v_cndmask_b32_e64 v12, 0, -1, s[2:3]
	v_cmp_le_u32_e64 s[2:3], s18, v11
	s_nop 1
	v_cndmask_b32_e64 v11, 0, -1, s[2:3]
	v_cmp_eq_u32_e64 s[2:3], s19, v10
	s_nop 1
	v_cndmask_b32_e64 v15, v12, v11, s[2:3]
	v_lshl_add_u64 v[10:11], v[8:9], 0, 2
	v_lshl_add_u64 v[12:13], v[8:9], 0, 1
	v_cmp_ne_u32_e64 s[2:3], 0, v15
	s_nop 1
	v_cndmask_b32_e64 v11, v13, v11, s[2:3]
	v_cndmask_b32_e64 v13, 0, -1, vcc
	v_cmp_le_u32_e32 vcc, s18, v14
	s_nop 1
	v_cndmask_b32_e64 v14, 0, -1, vcc
	v_cmp_eq_u32_e32 vcc, s19, v5
	s_nop 1
	v_cndmask_b32_e32 v5, v13, v14, vcc
	v_cmp_ne_u32_e32 vcc, 0, v5
	v_cndmask_b32_e64 v5, v12, v10, s[2:3]
	s_nop 0
	v_cndmask_b32_e32 v9, v9, v11, vcc
	v_cndmask_b32_e32 v8, v8, v5, vcc
.LBB0_4:                                ;   in Loop: Header=BB0_2 Depth=1
	s_andn2_saveexec_b64 s[2:3], s[20:21]
	s_cbranch_execz .LBB0_6
; %bb.5:                                ;   in Loop: Header=BB0_2 Depth=1
	v_cvt_f32_u32_e32 v5, s18
	s_sub_i32 s20, 0, s18
	v_rcp_iflag_f32_e32 v5, v5
	s_nop 0
	v_mul_f32_e32 v5, 0x4f7ffffe, v5
	v_cvt_u32_f32_e32 v5, v5
	v_mul_lo_u32 v8, s20, v5
	v_mul_hi_u32 v8, v5, v8
	v_add_u32_e32 v5, v5, v8
	v_mul_hi_u32 v5, v6, v5
	v_mul_lo_u32 v8, v5, s18
	v_sub_u32_e32 v8, v6, v8
	v_add_u32_e32 v9, 1, v5
	v_subrev_u32_e32 v10, s18, v8
	v_cmp_le_u32_e32 vcc, s18, v8
	s_nop 1
	v_cndmask_b32_e32 v8, v8, v10, vcc
	v_cndmask_b32_e32 v5, v5, v9, vcc
	v_add_u32_e32 v9, 1, v5
	v_cmp_le_u32_e32 vcc, s18, v8
	s_nop 1
	v_cndmask_b32_e32 v8, v5, v9, vcc
	v_mov_b32_e32 v9, v4
.LBB0_6:                                ;   in Loop: Header=BB0_2 Depth=1
	s_or_b64 exec, exec, s[2:3]
	v_mad_u64_u32 v[10:11], s[2:3], v8, s18, 0
	s_load_dwordx2 s[2:3], s[12:13], 0x0
	v_mul_lo_u32 v5, v9, s18
	v_mul_lo_u32 v12, v8, s19
	v_add3_u32 v5, v11, v12, v5
	v_sub_co_u32_e32 v6, vcc, v6, v10
	s_add_u32 s14, s14, 1
	s_nop 0
	v_subb_co_u32_e32 v5, vcc, v7, v5, vcc
	s_addc_u32 s15, s15, 0
	s_waitcnt lgkmcnt(0)
	v_mul_lo_u32 v5, s2, v5
	v_mul_lo_u32 v7, s3, v6
	v_mad_u64_u32 v[2:3], s[2:3], s2, v6, v[2:3]
	s_add_u32 s12, s12, 8
	v_add3_u32 v3, v7, v3, v5
	s_addc_u32 s13, s13, 0
	v_mov_b64_e32 v[6:7], s[6:7]
	s_add_u32 s16, s16, 8
	v_cmp_ge_u64_e32 vcc, s[14:15], v[6:7]
	s_addc_u32 s17, s17, 0
	s_cbranch_vccnz .LBB0_9
; %bb.7:                                ;   in Loop: Header=BB0_2 Depth=1
	v_mov_b64_e32 v[6:7], v[8:9]
	s_branch .LBB0_2
.LBB0_8:
	v_mov_b64_e32 v[8:9], v[6:7]
.LBB0_9:
	s_lshl_b64 s[2:3], s[6:7], 3
	s_add_u32 s2, s10, s2
	s_addc_u32 s3, s11, s3
	s_load_dwordx2 s[6:7], s[2:3], 0x0
	s_load_dwordx2 s[10:11], s[0:1], 0x20
	v_and_b32_e32 v1, 3, v1
	v_mul_u32_u24_e32 v1, 0x82, v1
	v_lshlrev_b32_e32 v30, 3, v1
	s_waitcnt lgkmcnt(0)
	v_mad_u64_u32 v[2:3], s[0:1], s6, v8, v[2:3]
	v_mul_lo_u32 v4, s6, v9
	v_mul_lo_u32 v5, s7, v8
	s_mov_b32 s0, 0x13b13b14
	v_add3_u32 v3, v5, v3, v4
	v_mul_hi_u32 v4, v0, s0
	v_mul_u32_u24_e32 v4, 13, v4
	v_sub_u32_e32 v24, v0, v4
	v_cmp_gt_u64_e32 vcc, s[10:11], v[8:9]
	v_lshl_add_u64 v[26:27], v[2:3], 3, s[8:9]
	v_lshlrev_b32_e32 v0, 3, v24
	s_and_saveexec_b64 s[0:1], vcc
	s_cbranch_execz .LBB0_11
; %bb.10:
	v_mov_b32_e32 v25, 0
	v_lshl_add_u64 v[2:3], v[24:25], 3, v[26:27]
	global_load_dwordx2 v[4:5], v[2:3], off
	global_load_dwordx2 v[6:7], v[2:3], off offset:104
	global_load_dwordx2 v[8:9], v[2:3], off offset:208
	global_load_dwordx2 v[10:11], v[2:3], off offset:312
	global_load_dwordx2 v[12:13], v[2:3], off offset:416
	global_load_dwordx2 v[14:15], v[2:3], off offset:520
	global_load_dwordx2 v[16:17], v[2:3], off offset:624
	global_load_dwordx2 v[18:19], v[2:3], off offset:728
	global_load_dwordx2 v[20:21], v[2:3], off offset:832
	global_load_dwordx2 v[22:23], v[2:3], off offset:936
	v_add3_u32 v1, 0, v30, v0
	s_waitcnt vmcnt(8)
	ds_write2_b64 v1, v[4:5], v[6:7] offset1:13
	s_waitcnt vmcnt(6)
	ds_write2_b64 v1, v[8:9], v[10:11] offset0:26 offset1:39
	s_waitcnt vmcnt(4)
	ds_write2_b64 v1, v[12:13], v[14:15] offset0:52 offset1:65
	;; [unrolled: 2-line block ×4, first 2 shown]
.LBB0_11:
	s_or_b64 exec, exec, s[0:1]
	v_add3_u32 v72, 0, v30, v0
	v_add_u32_e32 v31, 0, v0
	s_waitcnt lgkmcnt(0)
	; wave barrier
	s_waitcnt lgkmcnt(0)
	v_add_u32_e32 v25, v31, v30
	ds_read_b64 v[28:29], v72
	ds_read2_b64 v[12:15], v25 offset0:10 offset1:20
	ds_read2_b64 v[8:11], v25 offset0:30 offset1:40
	;; [unrolled: 1-line block ×6, first 2 shown]
	v_cmp_gt_u32_e64 s[0:1], 10, v24
	s_waitcnt lgkmcnt(0)
	; wave barrier
	s_waitcnt lgkmcnt(0)
	s_and_saveexec_b64 s[2:3], s[0:1]
	s_cbranch_execz .LBB0_13
; %bb.12:
	v_pk_add_f32 v[32:33], v[28:29], v[12:13]
	v_mul_u32_u24_e32 v34, 0x60, v24
	v_add3_u32 v73, v31, v34, v30
	v_pk_add_f32 v[30:31], v[32:33], v[14:15]
	v_pk_add_f32 v[76:77], v[12:13], v[22:23] neg_lo:[0,1] neg_hi:[0,1]
	v_pk_add_f32 v[30:31], v[30:31], v[8:9]
	s_mov_b32 s0, 0xbeedf032
	v_pk_add_f32 v[30:31], v[30:31], v[10:11]
	v_pk_add_f32 v[74:75], v[22:23], v[12:13]
	;; [unrolled: 1-line block ×5, first 2 shown]
	v_pk_add_f32 v[56:57], v[2:3], v[4:5] neg_lo:[0,1] neg_hi:[0,1]
	s_mov_b32 s8, 0x3f62ad3f
	v_pk_mul_f32 v[2:3], v[76:77], s[0:1] op_sel_hi:[1,0]
	v_pk_add_f32 v[30:31], v[30:31], v[4:5]
	v_pk_add_f32 v[78:79], v[14:15], v[20:21] neg_lo:[0,1] neg_hi:[0,1]
	v_pk_add_f32 v[58:59], v[6:7], v[0:1]
	v_pk_add_f32 v[60:61], v[0:1], v[6:7] neg_lo:[0,1] neg_hi:[0,1]
	v_pk_fma_f32 v[0:1], v[74:75], s[8:9], v[2:3] op_sel:[0,0,1] op_sel_hi:[1,0,0]
	v_pk_fma_f32 v[2:3], v[74:75], s[8:9], v[2:3] op_sel:[0,0,1] op_sel_hi:[1,0,0] neg_lo:[0,0,1] neg_hi:[0,0,1]
	s_mov_b32 s18, 0xbf52af12
	v_pk_add_f32 v[30:31], v[30:31], v[6:7]
	v_pk_add_f32 v[70:71], v[20:21], v[14:15]
	v_mov_b32_e32 v4, v0
	v_mov_b32_e32 v5, v3
	s_mov_b32 s6, 0x3f116cb1
	v_pk_mul_f32 v[6:7], v[78:79], s[18:19] op_sel_hi:[1,0]
	v_pk_add_f32 v[66:67], v[18:19], v[8:9]
	v_pk_add_f32 v[68:69], v[8:9], v[18:19] neg_lo:[0,1] neg_hi:[0,1]
	v_pk_add_f32 v[8:9], v[28:29], v[4:5]
	v_pk_fma_f32 v[4:5], v[70:71], s[6:7], v[6:7] op_sel:[0,0,1] op_sel_hi:[1,0,0]
	v_pk_fma_f32 v[6:7], v[70:71], s[6:7], v[6:7] op_sel:[0,0,1] op_sel_hi:[1,0,0] neg_lo:[0,0,1] neg_hi:[0,0,1]
	v_pk_add_f32 v[62:63], v[16:17], v[10:11]
	v_pk_add_f32 v[64:65], v[10:11], v[16:17] neg_lo:[0,1] neg_hi:[0,1]
	v_mov_b32_e32 v10, v4
	v_mov_b32_e32 v11, v7
	s_mov_b32 s26, 0xbf7e222b
	v_pk_add_f32 v[12:13], v[10:11], v[8:9]
	s_mov_b32 s0, 0x3df6dbef
	v_pk_mul_f32 v[10:11], v[68:69], s[26:27] op_sel_hi:[1,0]
	s_mov_b32 s12, 0xbf6f5d39
	v_pk_fma_f32 v[8:9], v[66:67], s[0:1], v[10:11] op_sel:[0,0,1] op_sel_hi:[1,0,0]
	v_pk_fma_f32 v[10:11], v[66:67], s[0:1], v[10:11] op_sel:[0,0,1] op_sel_hi:[1,0,0] neg_lo:[0,0,1] neg_hi:[0,0,1]
	v_mov_b32_e32 v14, v8
	v_mov_b32_e32 v15, v11
	v_pk_add_f32 v[30:31], v[30:31], v[16:17]
	v_pk_add_f32 v[16:17], v[14:15], v[12:13]
	s_mov_b32 s10, 0xbeb58ec6
	v_pk_mul_f32 v[14:15], v[64:65], s[12:13] op_sel_hi:[1,0]
	v_pk_add_f32 v[30:31], v[30:31], v[18:19]
	v_pk_fma_f32 v[12:13], v[62:63], s[10:11], v[14:15] op_sel:[0,0,1] op_sel_hi:[1,0,0]
	v_pk_fma_f32 v[14:15], v[62:63], s[10:11], v[14:15] op_sel:[0,0,1] op_sel_hi:[1,0,0] neg_lo:[0,0,1] neg_hi:[0,0,1]
	v_mov_b32_e32 v18, v12
	v_mov_b32_e32 v19, v15
	s_mov_b32 s16, 0xbf29c268
	v_pk_add_f32 v[30:31], v[30:31], v[20:21]
	v_pk_add_f32 v[20:21], v[18:19], v[16:17]
	s_mov_b32 s14, 0xbf3f9e67
	v_pk_mul_f32 v[18:19], v[60:61], s[16:17] op_sel_hi:[1,0]
	v_pk_add_f32 v[30:31], v[30:31], v[22:23]
	v_pk_fma_f32 v[16:17], v[58:59], s[14:15], v[18:19] op_sel:[0,0,1] op_sel_hi:[1,0,0]
	v_pk_fma_f32 v[18:19], v[58:59], s[14:15], v[18:19] op_sel:[0,0,1] op_sel_hi:[1,0,0] neg_lo:[0,0,1] neg_hi:[0,0,1]
	v_mov_b32_e32 v22, v16
	v_mov_b32_e32 v23, v19
	s_mov_b32 s22, 0xbe750f2a
	v_pk_add_f32 v[32:33], v[22:23], v[20:21]
	s_mov_b32 s20, 0xbf788fa5
	v_pk_mul_f32 v[22:23], v[56:57], s[22:23] op_sel_hi:[1,0]
	v_pk_mul_f32 v[36:37], v[78:79], s[12:13] op_sel_hi:[1,0]
	v_pk_fma_f32 v[20:21], v[54:55], s[20:21], v[22:23] op_sel:[0,0,1] op_sel_hi:[1,0,0]
	v_pk_fma_f32 v[22:23], v[54:55], s[20:21], v[22:23] op_sel:[0,0,1] op_sel_hi:[1,0,0] neg_lo:[0,0,1] neg_hi:[0,0,1]
	v_mov_b32_e32 v34, v20
	v_mov_b32_e32 v35, v23
	v_pk_add_f32 v[32:33], v[34:35], v[32:33]
	ds_write2_b64 v73, v[30:31], v[32:33] offset1:1
	v_pk_mul_f32 v[32:33], v[76:77], s[18:19] op_sel_hi:[1,0]
	s_mov_b32 s30, 0x3f29c268
	v_pk_fma_f32 v[30:31], v[74:75], s[6:7], v[32:33] op_sel:[0,0,1] op_sel_hi:[1,0,0]
	v_pk_fma_f32 v[32:33], v[74:75], s[6:7], v[32:33] op_sel:[0,0,1] op_sel_hi:[1,0,0] neg_lo:[0,0,1] neg_hi:[0,0,1]
	v_mov_b32_e32 v34, v30
	v_mov_b32_e32 v35, v33
	v_pk_add_f32 v[38:39], v[28:29], v[34:35]
	v_pk_fma_f32 v[34:35], v[70:71], s[10:11], v[36:37] op_sel:[0,0,1] op_sel_hi:[1,0,0]
	v_pk_fma_f32 v[36:37], v[70:71], s[10:11], v[36:37] op_sel:[0,0,1] op_sel_hi:[1,0,0] neg_lo:[0,0,1] neg_hi:[0,0,1]
	v_mov_b32_e32 v40, v34
	v_mov_b32_e32 v41, v37
	v_pk_add_f32 v[42:43], v[40:41], v[38:39]
	v_pk_mul_f32 v[40:41], v[68:69], s[22:23] op_sel_hi:[1,0]
	s_mov_b32 s24, 0x3f7e222b
	v_pk_fma_f32 v[38:39], v[66:67], s[20:21], v[40:41] op_sel:[0,0,1] op_sel_hi:[1,0,0]
	v_pk_fma_f32 v[40:41], v[66:67], s[20:21], v[40:41] op_sel:[0,0,1] op_sel_hi:[1,0,0] neg_lo:[0,0,1] neg_hi:[0,0,1]
	v_mov_b32_e32 v44, v38
	v_mov_b32_e32 v45, v41
	v_pk_add_f32 v[46:47], v[44:45], v[42:43]
	v_pk_mul_f32 v[44:45], v[64:65], s[30:31] op_sel_hi:[1,0]
	s_mov_b32 s28, 0x3eedf032
	v_pk_fma_f32 v[42:43], v[62:63], s[14:15], v[44:45] op_sel:[0,0,1] op_sel_hi:[1,0,0]
	v_pk_fma_f32 v[44:45], v[62:63], s[14:15], v[44:45] op_sel:[0,0,1] op_sel_hi:[1,0,0] neg_lo:[0,0,1] neg_hi:[0,0,1]
	v_mov_b32_e32 v48, v42
	v_mov_b32_e32 v49, v45
	v_pk_add_f32 v[50:51], v[48:49], v[46:47]
	v_pk_mul_f32 v[48:49], v[60:61], s[24:25] op_sel_hi:[1,0]
	v_pk_mul_f32 v[88:89], v[78:79], s[22:23] op_sel_hi:[1,0]
	v_pk_fma_f32 v[46:47], v[58:59], s[0:1], v[48:49] op_sel:[0,0,1] op_sel_hi:[1,0,0]
	v_pk_fma_f32 v[48:49], v[58:59], s[0:1], v[48:49] op_sel:[0,0,1] op_sel_hi:[1,0,0] neg_lo:[0,0,1] neg_hi:[0,0,1]
	v_mov_b32_e32 v52, v46
	v_mov_b32_e32 v53, v49
	v_pk_add_f32 v[80:81], v[52:53], v[50:51]
	v_pk_mul_f32 v[52:53], v[56:57], s[28:29] op_sel_hi:[1,0]
	v_pk_fma_f32 v[90:91], v[70:71], s[20:21], v[88:89] op_sel:[0,0,1] op_sel_hi:[1,0,0]
	v_pk_fma_f32 v[50:51], v[54:55], s[8:9], v[52:53] op_sel:[0,0,1] op_sel_hi:[1,0,0]
	v_pk_fma_f32 v[52:53], v[54:55], s[8:9], v[52:53] op_sel:[0,0,1] op_sel_hi:[1,0,0] neg_lo:[0,0,1] neg_hi:[0,0,1]
	v_mov_b32_e32 v82, v50
	v_mov_b32_e32 v83, v53
	v_pk_add_f32 v[80:81], v[82:83], v[80:81]
	v_pk_mul_f32 v[82:83], v[76:77], s[26:27] op_sel_hi:[1,0]
	v_pk_fma_f32 v[88:89], v[70:71], s[20:21], v[88:89] op_sel:[0,0,1] op_sel_hi:[1,0,0] neg_lo:[0,0,1] neg_hi:[0,0,1]
	v_pk_fma_f32 v[84:85], v[74:75], s[0:1], v[82:83] op_sel:[0,0,1] op_sel_hi:[1,0,0]
	v_pk_fma_f32 v[82:83], v[74:75], s[0:1], v[82:83] op_sel:[0,0,1] op_sel_hi:[1,0,0] neg_lo:[0,0,1] neg_hi:[0,0,1]
	v_mov_b32_e32 v86, v84
	v_mov_b32_e32 v87, v83
	v_pk_add_f32 v[86:87], v[28:29], v[86:87]
	v_mov_b32_e32 v92, v90
	v_mov_b32_e32 v93, v89
	s_mov_b32 s34, 0x3f6f5d39
	v_pk_add_f32 v[86:87], v[92:93], v[86:87]
	v_pk_mul_f32 v[92:93], v[68:69], s[34:35] op_sel_hi:[1,0]
	v_pk_mul_f32 v[110:111], v[78:79], s[30:31] op_sel_hi:[1,0]
	v_pk_fma_f32 v[94:95], v[66:67], s[10:11], v[92:93] op_sel:[0,0,1] op_sel_hi:[1,0,0]
	v_pk_fma_f32 v[92:93], v[66:67], s[10:11], v[92:93] op_sel:[0,0,1] op_sel_hi:[1,0,0] neg_lo:[0,0,1] neg_hi:[0,0,1]
	v_mov_b32_e32 v96, v94
	v_mov_b32_e32 v97, v93
	v_pk_add_f32 v[86:87], v[96:97], v[86:87]
	v_pk_mul_f32 v[96:97], v[64:65], s[28:29] op_sel_hi:[1,0]
	v_pk_fma_f32 v[112:113], v[70:71], s[14:15], v[110:111] op_sel:[0,0,1] op_sel_hi:[1,0,0]
	v_pk_fma_f32 v[98:99], v[62:63], s[8:9], v[96:97] op_sel:[0,0,1] op_sel_hi:[1,0,0]
	v_pk_fma_f32 v[96:97], v[62:63], s[8:9], v[96:97] op_sel:[0,0,1] op_sel_hi:[1,0,0] neg_lo:[0,0,1] neg_hi:[0,0,1]
	v_mov_b32_e32 v100, v98
	v_mov_b32_e32 v101, v97
	v_pk_add_f32 v[86:87], v[100:101], v[86:87]
	v_pk_mul_f32 v[100:101], v[60:61], s[18:19] op_sel_hi:[1,0]
	v_pk_fma_f32 v[110:111], v[70:71], s[14:15], v[110:111] op_sel:[0,0,1] op_sel_hi:[1,0,0] neg_lo:[0,0,1] neg_hi:[0,0,1]
	v_pk_fma_f32 v[102:103], v[58:59], s[6:7], v[100:101] op_sel:[0,0,1] op_sel_hi:[1,0,0]
	v_pk_fma_f32 v[100:101], v[58:59], s[6:7], v[100:101] op_sel:[0,0,1] op_sel_hi:[1,0,0] neg_lo:[0,0,1] neg_hi:[0,0,1]
	v_mov_b32_e32 v104, v102
	v_mov_b32_e32 v105, v101
	v_pk_add_f32 v[86:87], v[104:105], v[86:87]
	v_pk_mul_f32 v[104:105], v[56:57], s[16:17] op_sel_hi:[1,0]
	v_mov_b32_e32 v114, v112
	v_pk_fma_f32 v[106:107], v[54:55], s[14:15], v[104:105] op_sel:[0,0,1] op_sel_hi:[1,0,0]
	v_pk_fma_f32 v[104:105], v[54:55], s[14:15], v[104:105] op_sel:[0,0,1] op_sel_hi:[1,0,0] neg_lo:[0,0,1] neg_hi:[0,0,1]
	v_mov_b32_e32 v108, v106
	v_mov_b32_e32 v109, v105
	v_pk_add_f32 v[86:87], v[108:109], v[86:87]
	ds_write2_b64 v73, v[80:81], v[86:87] offset0:2 offset1:3
	v_pk_mul_f32 v[80:81], v[76:77], s[12:13] op_sel_hi:[1,0]
	v_mov_b32_e32 v115, v111
	v_pk_fma_f32 v[86:87], v[74:75], s[10:11], v[80:81] op_sel:[0,0,1] op_sel_hi:[1,0,0]
	v_pk_fma_f32 v[80:81], v[74:75], s[10:11], v[80:81] op_sel:[0,0,1] op_sel_hi:[1,0,0] neg_lo:[0,0,1] neg_hi:[0,0,1]
	v_mov_b32_e32 v108, v86
	v_mov_b32_e32 v109, v81
	v_pk_add_f32 v[108:109], v[28:29], v[108:109]
	s_mov_b32 s30, 0x3f52af12
	v_pk_add_f32 v[108:109], v[114:115], v[108:109]
	v_pk_mul_f32 v[114:115], v[68:69], s[28:29] op_sel_hi:[1,0]
	v_pk_mul_f32 v[136:137], v[78:79], s[24:25] op_sel_hi:[1,0]
	v_pk_fma_f32 v[116:117], v[66:67], s[8:9], v[114:115] op_sel:[0,0,1] op_sel_hi:[1,0,0]
	v_pk_fma_f32 v[114:115], v[66:67], s[8:9], v[114:115] op_sel:[0,0,1] op_sel_hi:[1,0,0] neg_lo:[0,0,1] neg_hi:[0,0,1]
	v_mov_b32_e32 v118, v116
	v_mov_b32_e32 v119, v115
	v_pk_add_f32 v[108:109], v[118:119], v[108:109]
	v_pk_mul_f32 v[118:119], v[64:65], s[26:27] op_sel_hi:[1,0]
	s_mov_b32 s26, 0x3e750f2a
	v_pk_fma_f32 v[120:121], v[62:63], s[0:1], v[118:119] op_sel:[0,0,1] op_sel_hi:[1,0,0]
	v_pk_fma_f32 v[118:119], v[62:63], s[0:1], v[118:119] op_sel:[0,0,1] op_sel_hi:[1,0,0] neg_lo:[0,0,1] neg_hi:[0,0,1]
	v_mov_b32_e32 v122, v120
	v_mov_b32_e32 v123, v119
	v_pk_add_f32 v[108:109], v[122:123], v[108:109]
	v_pk_mul_f32 v[122:123], v[60:61], s[26:27] op_sel_hi:[1,0]
	v_pk_fma_f32 v[138:139], v[70:71], s[0:1], v[136:137] op_sel:[0,0,1] op_sel_hi:[1,0,0]
	v_pk_fma_f32 v[124:125], v[58:59], s[20:21], v[122:123] op_sel:[0,0,1] op_sel_hi:[1,0,0]
	v_pk_fma_f32 v[122:123], v[58:59], s[20:21], v[122:123] op_sel:[0,0,1] op_sel_hi:[1,0,0] neg_lo:[0,0,1] neg_hi:[0,0,1]
	v_mov_b32_e32 v126, v124
	v_mov_b32_e32 v127, v123
	v_pk_add_f32 v[108:109], v[126:127], v[108:109]
	v_pk_mul_f32 v[126:127], v[56:57], s[30:31] op_sel_hi:[1,0]
	v_pk_fma_f32 v[136:137], v[70:71], s[0:1], v[136:137] op_sel:[0,0,1] op_sel_hi:[1,0,0] neg_lo:[0,0,1] neg_hi:[0,0,1]
	v_pk_fma_f32 v[128:129], v[54:55], s[6:7], v[126:127] op_sel:[0,0,1] op_sel_hi:[1,0,0]
	v_pk_fma_f32 v[126:127], v[54:55], s[6:7], v[126:127] op_sel:[0,0,1] op_sel_hi:[1,0,0] neg_lo:[0,0,1] neg_hi:[0,0,1]
	v_mov_b32_e32 v130, v128
	v_mov_b32_e32 v131, v127
	v_pk_add_f32 v[108:109], v[130:131], v[108:109]
	v_pk_mul_f32 v[130:131], v[76:77], s[16:17] op_sel_hi:[1,0]
	v_mov_b32_e32 v140, v138
	v_pk_fma_f32 v[132:133], v[74:75], s[14:15], v[130:131] op_sel:[0,0,1] op_sel_hi:[1,0,0]
	v_pk_fma_f32 v[130:131], v[74:75], s[14:15], v[130:131] op_sel:[0,0,1] op_sel_hi:[1,0,0] neg_lo:[0,0,1] neg_hi:[0,0,1]
	v_mov_b32_e32 v134, v132
	v_mov_b32_e32 v135, v131
	v_pk_add_f32 v[134:135], v[28:29], v[134:135]
	v_mov_b32_e32 v141, v137
	v_pk_add_f32 v[134:135], v[140:141], v[134:135]
	v_pk_mul_f32 v[140:141], v[68:69], s[18:19] op_sel_hi:[1,0]
	v_pk_mul_f32 v[76:77], v[76:77], s[22:23] op_sel_hi:[1,0]
	v_pk_fma_f32 v[142:143], v[66:67], s[6:7], v[140:141] op_sel:[0,0,1] op_sel_hi:[1,0,0]
	v_pk_fma_f32 v[140:141], v[66:67], s[6:7], v[140:141] op_sel:[0,0,1] op_sel_hi:[1,0,0] neg_lo:[0,0,1] neg_hi:[0,0,1]
	v_mov_b32_e32 v144, v142
	v_mov_b32_e32 v145, v141
	v_pk_add_f32 v[134:135], v[144:145], v[134:135]
	v_pk_mul_f32 v[144:145], v[64:65], s[26:27] op_sel_hi:[1,0]
	v_pk_mul_f32 v[68:69], v[68:69], s[16:17] op_sel_hi:[1,0]
	v_pk_fma_f32 v[146:147], v[62:63], s[20:21], v[144:145] op_sel:[0,0,1] op_sel_hi:[1,0,0]
	v_pk_fma_f32 v[144:145], v[62:63], s[20:21], v[144:145] op_sel:[0,0,1] op_sel_hi:[1,0,0] neg_lo:[0,0,1] neg_hi:[0,0,1]
	v_mov_b32_e32 v148, v146
	;; [unrolled: 7-line block ×4, first 2 shown]
	v_mov_b32_e32 v157, v153
	v_pk_add_f32 v[134:135], v[156:157], v[134:135]
	ds_write2_b64 v73, v[108:109], v[134:135] offset0:4 offset1:5
	v_pk_fma_f32 v[108:109], v[74:75], s[20:21], v[76:77] op_sel:[0,0,1] op_sel_hi:[1,0,0]
	v_pk_fma_f32 v[74:75], v[74:75], s[20:21], v[76:77] op_sel:[0,0,1] op_sel_hi:[1,0,0] neg_lo:[0,0,1] neg_hi:[0,0,1]
	v_pk_mul_f32 v[76:77], v[78:79], s[28:29] op_sel_hi:[1,0]
	v_pk_mul_f32 v[56:57], v[56:57], s[24:25] op_sel_hi:[1,0]
	v_pk_fma_f32 v[78:79], v[70:71], s[8:9], v[76:77] op_sel:[0,0,1] op_sel_hi:[1,0,0]
	v_pk_fma_f32 v[70:71], v[70:71], s[8:9], v[76:77] op_sel:[0,0,1] op_sel_hi:[1,0,0] neg_lo:[0,0,1] neg_hi:[0,0,1]
	v_mov_b32_e32 v76, v108
	v_mov_b32_e32 v77, v75
	v_pk_add_f32 v[76:77], v[28:29], v[76:77]
	v_mov_b32_e32 v134, v78
	v_mov_b32_e32 v135, v71
	v_pk_add_f32 v[76:77], v[134:135], v[76:77]
	v_pk_fma_f32 v[134:135], v[66:67], s[14:15], v[68:69] op_sel:[0,0,1] op_sel_hi:[1,0,0]
	v_pk_fma_f32 v[66:67], v[66:67], s[14:15], v[68:69] op_sel:[0,0,1] op_sel_hi:[1,0,0] neg_lo:[0,0,1] neg_hi:[0,0,1]
	v_mov_b32_e32 v68, v134
	v_mov_b32_e32 v69, v67
	v_pk_add_f32 v[68:69], v[68:69], v[76:77]
	v_pk_fma_f32 v[76:77], v[62:63], s[6:7], v[64:65] op_sel:[0,0,1] op_sel_hi:[1,0,0]
	v_pk_fma_f32 v[62:63], v[62:63], s[6:7], v[64:65] op_sel:[0,0,1] op_sel_hi:[1,0,0] neg_lo:[0,0,1] neg_hi:[0,0,1]
	;; [unrolled: 5-line block ×4, first 2 shown]
	v_mov_b32_e32 v56, v64
	v_mov_b32_e32 v57, v55
	;; [unrolled: 1-line block ×3, first 2 shown]
	v_pk_add_f32 v[56:57], v[56:57], v[60:61]
	v_mov_b32_e32 v71, v79
	v_pk_add_f32 v[60:61], v[28:29], v[74:75]
	v_mov_b32_e32 v67, v135
	;; [unrolled: 2-line block ×7, first 2 shown]
	ds_write2_b64 v73, v[56:57], v[54:55] offset0:6 offset1:7
	v_mov_b32_e32 v137, v139
	v_pk_add_f32 v[54:55], v[28:29], v[130:131]
	v_mov_b32_e32 v111, v113
	v_pk_add_f32 v[56:57], v[28:29], v[80:81]
	v_pk_add_f32 v[54:55], v[136:137], v[54:55]
	v_mov_b32_e32 v141, v143
	v_pk_add_f32 v[56:57], v[110:111], v[56:57]
	v_mov_b32_e32 v115, v117
	;; [unrolled: 2-line block ×8, first 2 shown]
	v_pk_add_f32 v[54:55], v[152:153], v[54:55]
	v_pk_add_f32 v[56:57], v[126:127], v[56:57]
	v_mov_b32_e32 v83, v85
	v_mov_b32_e32 v33, v31
	;; [unrolled: 1-line block ×3, first 2 shown]
	ds_write2_b64 v73, v[54:55], v[56:57] offset0:8 offset1:9
	v_mov_b32_e32 v89, v91
	v_pk_add_f32 v[54:55], v[28:29], v[82:83]
	v_pk_add_f32 v[30:31], v[28:29], v[32:33]
	v_mov_b32_e32 v37, v35
	v_pk_add_f32 v[0:1], v[28:29], v[2:3]
	v_mov_b32_e32 v7, v5
	;; [unrolled: 2-line block ×14, first 2 shown]
	v_pk_add_f32 v[54:55], v[104:105], v[54:55]
	v_pk_add_f32 v[30:31], v[52:53], v[30:31]
	;; [unrolled: 1-line block ×3, first 2 shown]
	ds_write2_b64 v73, v[54:55], v[30:31] offset0:10 offset1:11
	ds_write_b64 v73, v[0:1] offset:96
.LBB0_13:
	s_or_b64 exec, exec, s[2:3]
	v_mul_u32_u24_e32 v0, 9, v24
	v_lshlrev_b32_e32 v16, 3, v0
	s_waitcnt lgkmcnt(0)
	; wave barrier
	s_waitcnt lgkmcnt(0)
	global_load_dwordx4 v[0:3], v16, s[4:5]
	global_load_dwordx4 v[4:7], v16, s[4:5] offset:16
	global_load_dwordx4 v[8:11], v16, s[4:5] offset:32
	;; [unrolled: 1-line block ×3, first 2 shown]
	global_load_dwordx2 v[36:37], v16, s[4:5] offset:64
	ds_read2_b64 v[16:19], v25 offset0:13 offset1:26
	ds_read2_b64 v[20:23], v25 offset0:39 offset1:52
	;; [unrolled: 1-line block ×4, first 2 shown]
	ds_read_b64 v[38:39], v72
	ds_read_b64 v[40:41], v25 offset:936
	s_mov_b32 s0, 0x3e9e377a
	s_mov_b32 s1, 0x3f167918
	s_mov_b32 s2, 0x3f737871
	s_mov_b32 s4, s1
	s_mov_b32 s6, 0x3f4f1bbd
	s_mov_b32 s8, s1
	s_mov_b32 s9, s6
	s_mov_b32 s7, s1
	s_waitcnt lgkmcnt(0)
	; wave barrier
	s_waitcnt vmcnt(4) lgkmcnt(0)
	v_pk_mul_f32 v[42:43], v[0:1], v[16:17] op_sel:[0,1]
	v_pk_mul_f32 v[44:45], v[2:3], v[18:19] op_sel:[0,1]
	s_waitcnt vmcnt(3)
	v_pk_mul_f32 v[46:47], v[4:5], v[20:21] op_sel:[0,1]
	v_pk_mul_f32 v[48:49], v[6:7], v[22:23] op_sel:[0,1]
	s_waitcnt vmcnt(2)
	v_pk_mul_f32 v[50:51], v[8:9], v[28:29] op_sel:[0,1]
	v_mov_b32_e32 v52, v11
	s_waitcnt vmcnt(1)
	v_pk_mul_f32 v[54:55], v[32:33], v[12:13] op_sel:[0,1]
	s_waitcnt vmcnt(0)
	v_pk_mul_f32 v[58:59], v[40:41], v[36:37] op_sel:[0,1]
	v_pk_fma_f32 v[60:61], v[0:1], v[16:17], v[42:43] op_sel:[0,0,1] op_sel_hi:[1,0,0]
	v_pk_fma_f32 v[0:1], v[0:1], v[16:17], v[42:43] op_sel:[0,0,1] op_sel_hi:[1,0,0] neg_lo:[1,0,0] neg_hi:[1,0,0]
	v_pk_fma_f32 v[16:17], v[2:3], v[18:19], v[44:45] op_sel:[0,0,1] op_sel_hi:[1,1,0]
	v_pk_fma_f32 v[2:3], v[2:3], v[18:19], v[44:45] op_sel:[0,0,1] op_sel_hi:[1,0,0] neg_lo:[1,0,0] neg_hi:[1,0,0]
	;; [unrolled: 2-line block ×5, first 2 shown]
	v_pk_mul_f32 v[28:29], v[30:31], v[52:53] op_sel_hi:[1,0]
	v_pk_fma_f32 v[42:43], v[32:33], v[12:13], v[54:55] op_sel:[0,0,1] op_sel_hi:[1,1,0]
	v_pk_fma_f32 v[44:45], v[40:41], v[36:37], v[58:59] op_sel:[0,0,1] op_sel_hi:[1,1,0]
	v_mov_b32_e32 v56, v15
	v_mov_b32_e32 v17, v3
	;; [unrolled: 1-line block ×3, first 2 shown]
	v_pk_fma_f32 v[2:3], v[30:31], v[10:11], v[28:29] op_sel:[0,0,1] op_sel_hi:[1,1,0]
	v_pk_fma_f32 v[6:7], v[30:31], v[10:11], v[28:29] op_sel:[0,0,1] op_sel_hi:[1,0,0] neg_lo:[0,0,1] neg_hi:[0,0,1]
	v_mov_b32_e32 v28, v18
	v_mov_b32_e32 v29, v44
	;; [unrolled: 1-line block ×4, first 2 shown]
	v_pk_fma_f32 v[12:13], v[32:33], v[12:13], v[54:55] op_sel:[0,0,1] op_sel_hi:[1,0,0] neg_lo:[0,0,1] neg_hi:[0,0,1]
	v_pk_mul_f32 v[32:33], v[34:35], v[56:57] op_sel_hi:[1,0]
	v_pk_fma_f32 v[36:37], v[40:41], v[36:37], v[58:59] op_sel:[0,0,1] op_sel_hi:[1,0,0] neg_lo:[0,0,1] neg_hi:[0,0,1]
	v_pk_add_f32 v[40:41], v[28:29], v[30:31] neg_lo:[0,1] neg_hi:[0,1]
	v_mov_b32_e32 v23, v9
	v_mov_b32_e32 v43, v13
	v_pk_fma_f32 v[10:11], v[34:35], v[14:15], v[32:33] op_sel:[0,0,1] op_sel_hi:[1,1,0]
	v_pk_fma_f32 v[14:15], v[34:35], v[14:15], v[32:33] op_sel:[0,0,1] op_sel_hi:[1,0,0] neg_lo:[0,0,1] neg_hi:[0,0,1]
	v_pk_add_f32 v[28:29], v[30:31], v[28:29] neg_lo:[0,1] neg_hi:[0,1]
	v_mov_b32_e32 v0, v41
	v_mov_b32_e32 v19, v5
	;; [unrolled: 1-line block ×4, first 2 shown]
	v_pk_add_f32 v[14:15], v[22:23], v[42:43]
	v_pk_add_f32 v[34:35], v[22:23], v[42:43] neg_lo:[0,1] neg_hi:[0,1]
	v_mov_b32_e32 v4, v29
	v_pk_add_f32 v[30:31], v[40:41], v[0:1]
	v_mov_b32_e32 v8, v60
	v_pk_add_f32 v[32:33], v[18:19], v[44:45] neg_lo:[0,1] neg_hi:[0,1]
	v_pk_add_f32 v[46:47], v[18:19], v[44:45]
	v_fma_f32 v12, -0.5, v14, v60
	v_pk_add_f32 v[28:29], v[28:29], v[4:5]
	v_mov_b32_e32 v31, v35
	v_fmac_f32_e32 v8, -0.5, v46
	v_fmamk_f32 v14, v33, 0xbf737871, v12
	v_fmac_f32_e32 v12, 0x3f737871, v33
	v_mov_b32_e32 v29, v33
	v_pk_mul_f32 v[30:31], v[30:31], s[0:1]
	v_mov_b32_e32 v61, v1
	v_fmamk_f32 v0, v35, 0x3f737871, v8
	v_pk_mul_f32 v[28:29], v[28:29], s[0:1]
	v_sub_f32_e32 v4, v14, v31
	v_add_f32_e32 v12, v31, v12
	v_fmac_f32_e32 v8, 0xbf737871, v35
	v_sub_f32_e32 v14, v0, v29
	v_add_f32_e32 v0, v30, v4
	v_add_f32_e32 v4, v30, v12
	v_pk_add_f32 v[18:19], v[60:61], v[18:19]
	v_mov_b32_e32 v36, v5
	v_mov_b32_e32 v12, v9
	v_add_f32_e32 v29, v29, v8
	v_pk_add_f32 v[18:19], v[18:19], v[22:23]
	v_fma_f32 v15, -0.5, v15, v1
	v_pk_add_f32 v[22:23], v[36:37], v[12:13] neg_lo:[0,1] neg_hi:[0,1]
	v_add_f32_e32 v8, v28, v14
	v_add_f32_e32 v14, v28, v29
	v_fmamk_f32 v29, v32, 0x3f737871, v15
	v_mov_b32_e32 v28, v23
	v_pk_add_f32 v[22:23], v[22:23], v[28:29]
	v_fmac_f32_e32 v15, 0xbf737871, v32
	v_mov_b32_e32 v23, v34
	v_pk_mul_f32 v[22:23], v[22:23], s[0:1]
	v_pk_add_f32 v[12:13], v[12:13], v[36:37] neg_lo:[0,1] neg_hi:[0,1]
	v_add_f32_e32 v5, v23, v29
	v_mov_b32_e32 v3, v7
	v_add_f32_e32 v28, v22, v5
	v_sub_f32_e32 v5, v15, v23
	v_fmac_f32_e32 v1, -0.5, v47
	v_mov_b32_e32 v30, v13
	v_add_f32_e32 v22, v22, v5
	v_fmamk_f32 v5, v34, 0xbf737871, v1
	v_pk_add_f32 v[12:13], v[12:13], v[30:31]
	v_fmac_f32_e32 v1, 0x3f737871, v34
	v_pk_add_f32 v[34:35], v[20:21], v[2:3]
	v_pk_add_f32 v[36:37], v[16:17], v[10:11] neg_lo:[0,1] neg_hi:[0,1]
	v_pk_add_f32 v[18:19], v[18:19], v[42:43]
	v_mov_b32_e32 v13, v32
	v_pk_fma_f32 v[34:35], v[34:35], 0.5, v[38:39] op_sel_hi:[1,0,1] neg_lo:[1,0,0] neg_hi:[1,0,0]
	v_pk_mul_f32 v[40:41], v[36:37], s[2:3] op_sel_hi:[1,0]
	v_pk_add_f32 v[42:43], v[20:21], v[2:3] neg_lo:[0,1] neg_hi:[0,1]
	v_pk_add_f32 v[46:47], v[16:17], v[20:21] neg_lo:[0,1] neg_hi:[0,1]
	;; [unrolled: 1-line block ×3, first 2 shown]
	v_pk_add_f32 v[6:7], v[38:39], v[16:17]
	v_pk_add_f32 v[18:19], v[18:19], v[44:45]
	v_pk_mul_f32 v[12:13], v[12:13], s[0:1]
	v_pk_mul_f32 v[44:45], v[42:43], s[4:5] op_sel_hi:[1,0]
	v_pk_add_f32 v[46:47], v[46:47], v[48:49]
	v_pk_add_f32 v[48:49], v[34:35], v[40:41] op_sel:[0,1] op_sel_hi:[1,0] neg_lo:[0,1] neg_hi:[0,1]
	v_pk_add_f32 v[34:35], v[34:35], v[40:41] op_sel:[0,1] op_sel_hi:[1,0]
	v_pk_add_f32 v[6:7], v[6:7], v[20:21]
	v_add_f32_e32 v5, v13, v5
	v_sub_f32_e32 v1, v1, v13
	v_pk_add_f32 v[34:35], v[34:35], v[44:45] op_sel:[0,1] op_sel_hi:[1,0]
	v_pk_add_f32 v[40:41], v[48:49], v[44:45] op_sel:[0,1] op_sel_hi:[1,0] neg_lo:[0,1] neg_hi:[0,1]
	v_pk_mul_f32 v[28:29], v[28:29], s[8:9] op_sel_hi:[0,1]
	v_pk_add_f32 v[6:7], v[6:7], v[2:3]
	v_add_f32_e32 v30, v12, v5
	v_add_f32_e32 v12, v12, v1
	v_mov_b32_e32 v44, v40
	v_mov_b32_e32 v45, v35
	v_pk_fma_f32 v[48:49], v[0:1], s[6:7], v[28:29] neg_lo:[0,0,1] neg_hi:[0,0,1]
	v_pk_fma_f32 v[0:1], v[0:1], s[6:7], v[28:29] op_sel_hi:[0,1,1]
	v_pk_add_f32 v[6:7], v[6:7], v[10:11]
	v_pk_fma_f32 v[44:45], v[46:47], s[0:1], v[44:45] op_sel_hi:[1,0,1]
	v_mov_b32_e32 v49, v1
	v_pk_add_f32 v[32:33], v[6:7], v[18:19]
	v_pk_add_f32 v[0:1], v[44:45], v[48:49]
	s_mov_b32 s3, s0
	ds_write2_b64 v25, v[32:33], v[0:1] offset1:13
	v_pk_add_f32 v[0:1], v[16:17], v[10:11]
	v_pk_add_f32 v[16:17], v[20:21], v[16:17] neg_lo:[0,1] neg_hi:[0,1]
	v_pk_add_f32 v[2:3], v[2:3], v[10:11] neg_lo:[0,1] neg_hi:[0,1]
	s_mov_b32 s6, s0
	s_mov_b32 s7, s2
	v_pk_mul_f32 v[10:11], v[30:31], s[2:3] op_sel_hi:[0,1]
	v_pk_add_f32 v[2:3], v[16:17], v[2:3]
	v_pk_fma_f32 v[16:17], v[8:9], s[6:7], v[10:11] neg_lo:[0,0,1] neg_hi:[0,0,1]
	v_pk_fma_f32 v[8:9], v[8:9], s[6:7], v[10:11] op_sel_hi:[0,1,1]
	v_pk_fma_f32 v[0:1], v[0:1], 0.5, v[38:39] op_sel_hi:[1,0,1] neg_lo:[1,0,0] neg_hi:[1,0,0]
	v_mov_b32_e32 v17, v9
	v_pk_mul_f32 v[8:9], v[42:43], s[2:3] op_sel_hi:[1,0]
	v_pk_mul_f32 v[10:11], v[36:37], s[4:5] op_sel_hi:[1,0]
	v_pk_add_f32 v[20:21], v[0:1], v[8:9] op_sel:[0,1] op_sel_hi:[1,0]
	v_pk_add_f32 v[0:1], v[0:1], v[8:9] op_sel:[0,1] op_sel_hi:[1,0] neg_lo:[0,1] neg_hi:[0,1]
	v_pk_add_f32 v[8:9], v[20:21], v[10:11] op_sel:[0,1] op_sel_hi:[1,0] neg_lo:[0,1] neg_hi:[0,1]
	v_pk_add_f32 v[0:1], v[0:1], v[10:11] op_sel:[0,1] op_sel_hi:[1,0]
	v_mov_b32_e32 v10, v8
	v_mov_b32_e32 v11, v1
	s_mov_b32 s4, 0xbe9e377a
	s_mov_b32 s5, s2
	v_pk_mul_f32 v[12:13], v[12:13], s[2:3] op_sel_hi:[0,1]
	v_mov_b32_e32 v1, v9
	v_pk_fma_f32 v[10:11], v[2:3], s[0:1], v[10:11] op_sel_hi:[1,0,1]
	v_pk_fma_f32 v[12:13], v[14:15], s[4:5], v[12:13] op_sel_hi:[0,1,1] neg_lo:[0,0,1] neg_hi:[0,0,1]
	v_pk_fma_f32 v[0:1], v[2:3], s[0:1], v[0:1] op_sel_hi:[1,0,1]
	v_pk_add_f32 v[20:21], v[10:11], v[16:17]
	v_pk_add_f32 v[2:3], v[0:1], v[12:13]
	ds_write2_b64 v25, v[20:21], v[2:3] offset0:26 offset1:39
	s_mov_b32 s2, 0xbf4f1bbd
	s_mov_b32 s3, s1
	v_pk_mul_f32 v[2:3], v[22:23], s[8:9] op_sel_hi:[0,1]
	v_mov_b32_e32 v35, v41
	v_pk_fma_f32 v[2:3], v[4:5], s[2:3], v[2:3] op_sel_hi:[0,1,1] neg_lo:[0,0,1] neg_hi:[0,0,1]
	v_pk_fma_f32 v[4:5], v[46:47], s[0:1], v[34:35] op_sel_hi:[1,0,1]
	v_pk_add_f32 v[6:7], v[6:7], v[18:19] neg_lo:[0,1] neg_hi:[0,1]
	v_pk_add_f32 v[8:9], v[4:5], v[2:3]
	ds_write2_b64 v25, v[8:9], v[6:7] offset0:52 offset1:65
	v_pk_add_f32 v[6:7], v[44:45], v[48:49] neg_lo:[0,1] neg_hi:[0,1]
	v_pk_add_f32 v[8:9], v[10:11], v[16:17] neg_lo:[0,1] neg_hi:[0,1]
	;; [unrolled: 1-line block ×4, first 2 shown]
	ds_write2_b64 v25, v[6:7], v[8:9] offset0:78 offset1:91
	ds_write2_b64 v25, v[0:1], v[2:3] offset0:104 offset1:117
	s_waitcnt lgkmcnt(0)
	; wave barrier
	s_waitcnt lgkmcnt(0)
	s_and_saveexec_b64 s[0:1], vcc
	s_cbranch_execz .LBB0_15
; %bb.14:
	ds_read2_b64 v[0:3], v72 offset1:13
	v_mov_b32_e32 v25, 0
	v_lshl_add_u64 v[12:13], v[24:25], 3, v[26:27]
	ds_read2_b64 v[4:7], v72 offset0:26 offset1:39
	s_waitcnt lgkmcnt(1)
	global_store_dwordx2 v[12:13], v[0:1], off
	global_store_dwordx2 v[12:13], v[2:3], off offset:104
	ds_read2_b64 v[0:3], v72 offset0:52 offset1:65
	ds_read2_b64 v[8:11], v72 offset0:78 offset1:91
	s_waitcnt lgkmcnt(2)
	global_store_dwordx2 v[12:13], v[4:5], off offset:208
	global_store_dwordx2 v[12:13], v[6:7], off offset:312
	ds_read2_b64 v[4:7], v72 offset0:104 offset1:117
	s_waitcnt lgkmcnt(2)
	global_store_dwordx2 v[12:13], v[0:1], off offset:416
	global_store_dwordx2 v[12:13], v[2:3], off offset:520
	s_waitcnt lgkmcnt(1)
	global_store_dwordx2 v[12:13], v[8:9], off offset:624
	global_store_dwordx2 v[12:13], v[10:11], off offset:728
	;; [unrolled: 3-line block ×3, first 2 shown]
.LBB0_15:
	s_endpgm
	.section	.rodata,"a",@progbits
	.p2align	6, 0x0
	.amdhsa_kernel fft_rtc_back_len130_factors_13_10_wgs_52_tpt_13_sp_ip_CI_unitstride_sbrr_dirReg
		.amdhsa_group_segment_fixed_size 0
		.amdhsa_private_segment_fixed_size 0
		.amdhsa_kernarg_size 88
		.amdhsa_user_sgpr_count 2
		.amdhsa_user_sgpr_dispatch_ptr 0
		.amdhsa_user_sgpr_queue_ptr 0
		.amdhsa_user_sgpr_kernarg_segment_ptr 1
		.amdhsa_user_sgpr_dispatch_id 0
		.amdhsa_user_sgpr_kernarg_preload_length 0
		.amdhsa_user_sgpr_kernarg_preload_offset 0
		.amdhsa_user_sgpr_private_segment_size 0
		.amdhsa_uses_dynamic_stack 0
		.amdhsa_enable_private_segment 0
		.amdhsa_system_sgpr_workgroup_id_x 1
		.amdhsa_system_sgpr_workgroup_id_y 0
		.amdhsa_system_sgpr_workgroup_id_z 0
		.amdhsa_system_sgpr_workgroup_info 0
		.amdhsa_system_vgpr_workitem_id 0
		.amdhsa_next_free_vgpr 158
		.amdhsa_next_free_sgpr 36
		.amdhsa_accum_offset 160
		.amdhsa_reserve_vcc 1
		.amdhsa_float_round_mode_32 0
		.amdhsa_float_round_mode_16_64 0
		.amdhsa_float_denorm_mode_32 3
		.amdhsa_float_denorm_mode_16_64 3
		.amdhsa_dx10_clamp 1
		.amdhsa_ieee_mode 1
		.amdhsa_fp16_overflow 0
		.amdhsa_tg_split 0
		.amdhsa_exception_fp_ieee_invalid_op 0
		.amdhsa_exception_fp_denorm_src 0
		.amdhsa_exception_fp_ieee_div_zero 0
		.amdhsa_exception_fp_ieee_overflow 0
		.amdhsa_exception_fp_ieee_underflow 0
		.amdhsa_exception_fp_ieee_inexact 0
		.amdhsa_exception_int_div_zero 0
	.end_amdhsa_kernel
	.text
.Lfunc_end0:
	.size	fft_rtc_back_len130_factors_13_10_wgs_52_tpt_13_sp_ip_CI_unitstride_sbrr_dirReg, .Lfunc_end0-fft_rtc_back_len130_factors_13_10_wgs_52_tpt_13_sp_ip_CI_unitstride_sbrr_dirReg
                                        ; -- End function
	.section	.AMDGPU.csdata,"",@progbits
; Kernel info:
; codeLenInByte = 5276
; NumSgprs: 42
; NumVgprs: 158
; NumAgprs: 0
; TotalNumVgprs: 158
; ScratchSize: 0
; MemoryBound: 0
; FloatMode: 240
; IeeeMode: 1
; LDSByteSize: 0 bytes/workgroup (compile time only)
; SGPRBlocks: 5
; VGPRBlocks: 19
; NumSGPRsForWavesPerEU: 42
; NumVGPRsForWavesPerEU: 158
; AccumOffset: 160
; Occupancy: 3
; WaveLimiterHint : 1
; COMPUTE_PGM_RSRC2:SCRATCH_EN: 0
; COMPUTE_PGM_RSRC2:USER_SGPR: 2
; COMPUTE_PGM_RSRC2:TRAP_HANDLER: 0
; COMPUTE_PGM_RSRC2:TGID_X_EN: 1
; COMPUTE_PGM_RSRC2:TGID_Y_EN: 0
; COMPUTE_PGM_RSRC2:TGID_Z_EN: 0
; COMPUTE_PGM_RSRC2:TIDIG_COMP_CNT: 0
; COMPUTE_PGM_RSRC3_GFX90A:ACCUM_OFFSET: 39
; COMPUTE_PGM_RSRC3_GFX90A:TG_SPLIT: 0
	.text
	.p2alignl 6, 3212836864
	.fill 256, 4, 3212836864
	.type	__hip_cuid_1b3738005c488978,@object ; @__hip_cuid_1b3738005c488978
	.section	.bss,"aw",@nobits
	.globl	__hip_cuid_1b3738005c488978
__hip_cuid_1b3738005c488978:
	.byte	0                               ; 0x0
	.size	__hip_cuid_1b3738005c488978, 1

	.ident	"AMD clang version 19.0.0git (https://github.com/RadeonOpenCompute/llvm-project roc-6.4.0 25133 c7fe45cf4b819c5991fe208aaa96edf142730f1d)"
	.section	".note.GNU-stack","",@progbits
	.addrsig
	.addrsig_sym __hip_cuid_1b3738005c488978
	.amdgpu_metadata
---
amdhsa.kernels:
  - .agpr_count:     0
    .args:
      - .actual_access:  read_only
        .address_space:  global
        .offset:         0
        .size:           8
        .value_kind:     global_buffer
      - .offset:         8
        .size:           8
        .value_kind:     by_value
      - .actual_access:  read_only
        .address_space:  global
        .offset:         16
        .size:           8
        .value_kind:     global_buffer
      - .actual_access:  read_only
        .address_space:  global
        .offset:         24
        .size:           8
        .value_kind:     global_buffer
      - .offset:         32
        .size:           8
        .value_kind:     by_value
      - .actual_access:  read_only
        .address_space:  global
        .offset:         40
        .size:           8
        .value_kind:     global_buffer
      - .actual_access:  read_only
        .address_space:  global
        .offset:         48
        .size:           8
        .value_kind:     global_buffer
      - .offset:         56
        .size:           4
        .value_kind:     by_value
      - .actual_access:  read_only
        .address_space:  global
        .offset:         64
        .size:           8
        .value_kind:     global_buffer
      - .actual_access:  read_only
        .address_space:  global
        .offset:         72
        .size:           8
        .value_kind:     global_buffer
      - .address_space:  global
        .offset:         80
        .size:           8
        .value_kind:     global_buffer
    .group_segment_fixed_size: 0
    .kernarg_segment_align: 8
    .kernarg_segment_size: 88
    .language:       OpenCL C
    .language_version:
      - 2
      - 0
    .max_flat_workgroup_size: 52
    .name:           fft_rtc_back_len130_factors_13_10_wgs_52_tpt_13_sp_ip_CI_unitstride_sbrr_dirReg
    .private_segment_fixed_size: 0
    .sgpr_count:     42
    .sgpr_spill_count: 0
    .symbol:         fft_rtc_back_len130_factors_13_10_wgs_52_tpt_13_sp_ip_CI_unitstride_sbrr_dirReg.kd
    .uniform_work_group_size: 1
    .uses_dynamic_stack: false
    .vgpr_count:     158
    .vgpr_spill_count: 0
    .wavefront_size: 64
amdhsa.target:   amdgcn-amd-amdhsa--gfx950
amdhsa.version:
  - 1
  - 2
...

	.end_amdgpu_metadata
